;; amdgpu-corpus repo=ROCm/rocFFT kind=compiled arch=gfx906 opt=O3
	.text
	.amdgcn_target "amdgcn-amd-amdhsa--gfx906"
	.amdhsa_code_object_version 6
	.protected	fft_rtc_fwd_len990_factors_2_3_3_5_11_wgs_110_tpt_110_sp_op_CI_CI_unitstride_sbrr_R2C_dirReg ; -- Begin function fft_rtc_fwd_len990_factors_2_3_3_5_11_wgs_110_tpt_110_sp_op_CI_CI_unitstride_sbrr_R2C_dirReg
	.globl	fft_rtc_fwd_len990_factors_2_3_3_5_11_wgs_110_tpt_110_sp_op_CI_CI_unitstride_sbrr_R2C_dirReg
	.p2align	8
	.type	fft_rtc_fwd_len990_factors_2_3_3_5_11_wgs_110_tpt_110_sp_op_CI_CI_unitstride_sbrr_R2C_dirReg,@function
fft_rtc_fwd_len990_factors_2_3_3_5_11_wgs_110_tpt_110_sp_op_CI_CI_unitstride_sbrr_R2C_dirReg: ; @fft_rtc_fwd_len990_factors_2_3_3_5_11_wgs_110_tpt_110_sp_op_CI_CI_unitstride_sbrr_R2C_dirReg
; %bb.0:
	s_load_dwordx4 s[8:11], s[4:5], 0x58
	s_load_dwordx4 s[12:15], s[4:5], 0x0
	;; [unrolled: 1-line block ×3, first 2 shown]
	v_mul_u32_u24_e32 v1, 0x254, v0
	v_add_u32_sdwa v5, s6, v1 dst_sel:DWORD dst_unused:UNUSED_PAD src0_sel:DWORD src1_sel:WORD_1
	v_mov_b32_e32 v3, 0
	s_waitcnt lgkmcnt(0)
	v_cmp_lt_u64_e64 s[0:1], s[14:15], 2
	v_mov_b32_e32 v1, 0
	v_mov_b32_e32 v6, v3
	s_and_b64 vcc, exec, s[0:1]
	v_mov_b32_e32 v2, 0
	s_cbranch_vccnz .LBB0_8
; %bb.1:
	s_load_dwordx2 s[0:1], s[4:5], 0x10
	s_add_u32 s2, s18, 8
	s_addc_u32 s3, s19, 0
	s_add_u32 s6, s16, 8
	v_mov_b32_e32 v1, 0
	s_addc_u32 s7, s17, 0
	v_mov_b32_e32 v2, 0
	s_waitcnt lgkmcnt(0)
	s_add_u32 s20, s0, 8
	v_mov_b32_e32 v21, v2
	s_addc_u32 s21, s1, 0
	s_mov_b64 s[22:23], 1
	v_mov_b32_e32 v20, v1
.LBB0_2:                                ; =>This Inner Loop Header: Depth=1
	s_load_dwordx2 s[24:25], s[20:21], 0x0
                                        ; implicit-def: $vgpr22_vgpr23
	s_waitcnt lgkmcnt(0)
	v_or_b32_e32 v4, s25, v6
	v_cmp_ne_u64_e32 vcc, 0, v[3:4]
	s_and_saveexec_b64 s[0:1], vcc
	s_xor_b64 s[26:27], exec, s[0:1]
	s_cbranch_execz .LBB0_4
; %bb.3:                                ;   in Loop: Header=BB0_2 Depth=1
	v_cvt_f32_u32_e32 v4, s24
	v_cvt_f32_u32_e32 v7, s25
	s_sub_u32 s0, 0, s24
	s_subb_u32 s1, 0, s25
	v_mac_f32_e32 v4, 0x4f800000, v7
	v_rcp_f32_e32 v4, v4
	v_mul_f32_e32 v4, 0x5f7ffffc, v4
	v_mul_f32_e32 v7, 0x2f800000, v4
	v_trunc_f32_e32 v7, v7
	v_mac_f32_e32 v4, 0xcf800000, v7
	v_cvt_u32_f32_e32 v7, v7
	v_cvt_u32_f32_e32 v4, v4
	v_mul_lo_u32 v8, s0, v7
	v_mul_hi_u32 v9, s0, v4
	v_mul_lo_u32 v11, s1, v4
	v_mul_lo_u32 v10, s0, v4
	v_add_u32_e32 v8, v9, v8
	v_add_u32_e32 v8, v8, v11
	v_mul_hi_u32 v9, v4, v10
	v_mul_lo_u32 v11, v4, v8
	v_mul_hi_u32 v13, v4, v8
	v_mul_hi_u32 v12, v7, v10
	v_mul_lo_u32 v10, v7, v10
	v_mul_hi_u32 v14, v7, v8
	v_add_co_u32_e32 v9, vcc, v9, v11
	v_addc_co_u32_e32 v11, vcc, 0, v13, vcc
	v_mul_lo_u32 v8, v7, v8
	v_add_co_u32_e32 v9, vcc, v9, v10
	v_addc_co_u32_e32 v9, vcc, v11, v12, vcc
	v_addc_co_u32_e32 v10, vcc, 0, v14, vcc
	v_add_co_u32_e32 v8, vcc, v9, v8
	v_addc_co_u32_e32 v9, vcc, 0, v10, vcc
	v_add_co_u32_e32 v4, vcc, v4, v8
	v_addc_co_u32_e32 v7, vcc, v7, v9, vcc
	v_mul_lo_u32 v8, s0, v7
	v_mul_hi_u32 v9, s0, v4
	v_mul_lo_u32 v10, s1, v4
	v_mul_lo_u32 v11, s0, v4
	v_add_u32_e32 v8, v9, v8
	v_add_u32_e32 v8, v8, v10
	v_mul_lo_u32 v12, v4, v8
	v_mul_hi_u32 v13, v4, v11
	v_mul_hi_u32 v14, v4, v8
	v_mul_hi_u32 v10, v7, v11
	v_mul_lo_u32 v11, v7, v11
	v_mul_hi_u32 v9, v7, v8
	v_add_co_u32_e32 v12, vcc, v13, v12
	v_addc_co_u32_e32 v13, vcc, 0, v14, vcc
	v_mul_lo_u32 v8, v7, v8
	v_add_co_u32_e32 v11, vcc, v12, v11
	v_addc_co_u32_e32 v10, vcc, v13, v10, vcc
	v_addc_co_u32_e32 v9, vcc, 0, v9, vcc
	v_add_co_u32_e32 v8, vcc, v10, v8
	v_addc_co_u32_e32 v9, vcc, 0, v9, vcc
	v_add_co_u32_e32 v4, vcc, v4, v8
	v_addc_co_u32_e32 v9, vcc, v7, v9, vcc
	v_mad_u64_u32 v[7:8], s[0:1], v5, v9, 0
	v_mul_hi_u32 v10, v5, v4
	v_add_co_u32_e32 v11, vcc, v10, v7
	v_addc_co_u32_e32 v12, vcc, 0, v8, vcc
	v_mad_u64_u32 v[7:8], s[0:1], v6, v4, 0
	v_mad_u64_u32 v[9:10], s[0:1], v6, v9, 0
	v_add_co_u32_e32 v4, vcc, v11, v7
	v_addc_co_u32_e32 v4, vcc, v12, v8, vcc
	v_addc_co_u32_e32 v7, vcc, 0, v10, vcc
	v_add_co_u32_e32 v4, vcc, v4, v9
	v_addc_co_u32_e32 v9, vcc, 0, v7, vcc
	v_mul_lo_u32 v10, s25, v4
	v_mul_lo_u32 v11, s24, v9
	v_mad_u64_u32 v[7:8], s[0:1], s24, v4, 0
	v_add3_u32 v8, v8, v11, v10
	v_sub_u32_e32 v10, v6, v8
	v_mov_b32_e32 v11, s25
	v_sub_co_u32_e32 v7, vcc, v5, v7
	v_subb_co_u32_e64 v10, s[0:1], v10, v11, vcc
	v_subrev_co_u32_e64 v11, s[0:1], s24, v7
	v_subbrev_co_u32_e64 v10, s[0:1], 0, v10, s[0:1]
	v_cmp_le_u32_e64 s[0:1], s25, v10
	v_cndmask_b32_e64 v12, 0, -1, s[0:1]
	v_cmp_le_u32_e64 s[0:1], s24, v11
	v_cndmask_b32_e64 v11, 0, -1, s[0:1]
	v_cmp_eq_u32_e64 s[0:1], s25, v10
	v_cndmask_b32_e64 v10, v12, v11, s[0:1]
	v_add_co_u32_e64 v11, s[0:1], 2, v4
	v_addc_co_u32_e64 v12, s[0:1], 0, v9, s[0:1]
	v_add_co_u32_e64 v13, s[0:1], 1, v4
	v_addc_co_u32_e64 v14, s[0:1], 0, v9, s[0:1]
	v_subb_co_u32_e32 v8, vcc, v6, v8, vcc
	v_cmp_ne_u32_e64 s[0:1], 0, v10
	v_cmp_le_u32_e32 vcc, s25, v8
	v_cndmask_b32_e64 v10, v14, v12, s[0:1]
	v_cndmask_b32_e64 v12, 0, -1, vcc
	v_cmp_le_u32_e32 vcc, s24, v7
	v_cndmask_b32_e64 v7, 0, -1, vcc
	v_cmp_eq_u32_e32 vcc, s25, v8
	v_cndmask_b32_e32 v7, v12, v7, vcc
	v_cmp_ne_u32_e32 vcc, 0, v7
	v_cndmask_b32_e64 v7, v13, v11, s[0:1]
	v_cndmask_b32_e32 v23, v9, v10, vcc
	v_cndmask_b32_e32 v22, v4, v7, vcc
.LBB0_4:                                ;   in Loop: Header=BB0_2 Depth=1
	s_andn2_saveexec_b64 s[0:1], s[26:27]
	s_cbranch_execz .LBB0_6
; %bb.5:                                ;   in Loop: Header=BB0_2 Depth=1
	v_cvt_f32_u32_e32 v4, s24
	s_sub_i32 s26, 0, s24
	v_mov_b32_e32 v23, v3
	v_rcp_iflag_f32_e32 v4, v4
	v_mul_f32_e32 v4, 0x4f7ffffe, v4
	v_cvt_u32_f32_e32 v4, v4
	v_mul_lo_u32 v7, s26, v4
	v_mul_hi_u32 v7, v4, v7
	v_add_u32_e32 v4, v4, v7
	v_mul_hi_u32 v4, v5, v4
	v_mul_lo_u32 v7, v4, s24
	v_add_u32_e32 v8, 1, v4
	v_sub_u32_e32 v7, v5, v7
	v_subrev_u32_e32 v9, s24, v7
	v_cmp_le_u32_e32 vcc, s24, v7
	v_cndmask_b32_e32 v7, v7, v9, vcc
	v_cndmask_b32_e32 v4, v4, v8, vcc
	v_add_u32_e32 v8, 1, v4
	v_cmp_le_u32_e32 vcc, s24, v7
	v_cndmask_b32_e32 v22, v4, v8, vcc
.LBB0_6:                                ;   in Loop: Header=BB0_2 Depth=1
	s_or_b64 exec, exec, s[0:1]
	v_mul_lo_u32 v4, v23, s24
	v_mul_lo_u32 v9, v22, s25
	v_mad_u64_u32 v[7:8], s[0:1], v22, s24, 0
	s_load_dwordx2 s[0:1], s[6:7], 0x0
	s_load_dwordx2 s[24:25], s[2:3], 0x0
	v_add3_u32 v4, v8, v9, v4
	v_sub_co_u32_e32 v5, vcc, v5, v7
	v_subb_co_u32_e32 v4, vcc, v6, v4, vcc
	s_waitcnt lgkmcnt(0)
	v_mul_lo_u32 v6, s0, v4
	v_mul_lo_u32 v7, s1, v5
	v_mad_u64_u32 v[1:2], s[0:1], s0, v5, v[1:2]
	v_mul_lo_u32 v4, s24, v4
	v_mul_lo_u32 v8, s25, v5
	v_mad_u64_u32 v[20:21], s[0:1], s24, v5, v[20:21]
	s_add_u32 s22, s22, 1
	s_addc_u32 s23, s23, 0
	s_add_u32 s2, s2, 8
	v_add3_u32 v21, v8, v21, v4
	s_addc_u32 s3, s3, 0
	v_mov_b32_e32 v4, s14
	s_add_u32 s6, s6, 8
	v_mov_b32_e32 v5, s15
	s_addc_u32 s7, s7, 0
	v_cmp_ge_u64_e32 vcc, s[22:23], v[4:5]
	s_add_u32 s20, s20, 8
	v_add3_u32 v2, v7, v2, v6
	s_addc_u32 s21, s21, 0
	s_cbranch_vccnz .LBB0_9
; %bb.7:                                ;   in Loop: Header=BB0_2 Depth=1
	v_mov_b32_e32 v5, v22
	v_mov_b32_e32 v6, v23
	s_branch .LBB0_2
.LBB0_8:
	v_mov_b32_e32 v21, v2
	v_mov_b32_e32 v23, v6
	;; [unrolled: 1-line block ×4, first 2 shown]
.LBB0_9:
	s_load_dwordx2 s[4:5], s[4:5], 0x28
	s_lshl_b64 s[6:7], s[14:15], 3
	s_add_u32 s2, s18, s6
	s_addc_u32 s3, s19, s7
                                        ; implicit-def: $vgpr24
                                        ; implicit-def: $vgpr26
                                        ; implicit-def: $vgpr29
                                        ; implicit-def: $vgpr28
	s_waitcnt lgkmcnt(0)
	v_cmp_gt_u64_e64 s[0:1], s[4:5], v[22:23]
	v_cmp_le_u64_e32 vcc, s[4:5], v[22:23]
	s_and_saveexec_b64 s[4:5], vcc
	s_xor_b64 s[4:5], exec, s[4:5]
; %bb.10:
	s_mov_b32 s14, 0x253c826
	v_mul_hi_u32 v1, v0, s14
	v_mul_u32_u24_e32 v1, 0x6e, v1
	v_sub_u32_e32 v24, v0, v1
	v_add_u32_e32 v26, 0x6e, v24
	v_add_u32_e32 v29, 0xdc, v24
	;; [unrolled: 1-line block ×3, first 2 shown]
                                        ; implicit-def: $vgpr0
                                        ; implicit-def: $vgpr1_vgpr2
; %bb.11:
	s_andn2_saveexec_b64 s[4:5], s[4:5]
	s_cbranch_execz .LBB0_13
; %bb.12:
	s_add_u32 s6, s16, s6
	s_addc_u32 s7, s17, s7
	s_load_dwordx2 s[6:7], s[6:7], 0x0
	s_mov_b32 s14, 0x253c826
	v_mul_hi_u32 v5, v0, s14
	s_waitcnt lgkmcnt(0)
	v_mul_lo_u32 v6, s7, v22
	v_mul_lo_u32 v7, s6, v23
	v_mad_u64_u32 v[3:4], s[6:7], s6, v22, 0
	v_mul_u32_u24_e32 v5, 0x6e, v5
	v_sub_u32_e32 v24, v0, v5
	v_add3_u32 v4, v4, v7, v6
	v_lshlrev_b64 v[3:4], 3, v[3:4]
	v_mov_b32_e32 v0, s9
	v_add_co_u32_e32 v3, vcc, s8, v3
	v_addc_co_u32_e32 v4, vcc, v0, v4, vcc
	v_lshlrev_b64 v[0:1], 3, v[1:2]
	v_lshlrev_b32_e32 v25, 3, v24
	v_add_co_u32_e32 v0, vcc, v3, v0
	v_addc_co_u32_e32 v1, vcc, v4, v1, vcc
	v_add_co_u32_e32 v0, vcc, v0, v25
	v_addc_co_u32_e32 v1, vcc, 0, v1, vcc
	v_add_co_u32_e32 v10, vcc, 0x1000, v0
	global_load_dwordx2 v[2:3], v[0:1], off
	global_load_dwordx2 v[4:5], v[0:1], off offset:880
	global_load_dwordx2 v[6:7], v[0:1], off offset:1760
	;; [unrolled: 1-line block ×3, first 2 shown]
	v_addc_co_u32_e32 v11, vcc, 0, v1, vcc
	global_load_dwordx2 v[12:13], v[0:1], off offset:3520
	global_load_dwordx2 v[14:15], v[10:11], off offset:304
	;; [unrolled: 1-line block ×5, first 2 shown]
	v_add_u32_e32 v26, 0x6e, v24
	v_add_u32_e32 v29, 0xdc, v24
	;; [unrolled: 1-line block ×7, first 2 shown]
	s_waitcnt vmcnt(7)
	ds_write2_b64 v0, v[2:3], v[4:5] offset1:110
	s_waitcnt vmcnt(5)
	ds_write2_b64 v1, v[6:7], v[8:9] offset0:92 offset1:202
	s_waitcnt vmcnt(3)
	ds_write2_b64 v10, v[12:13], v[14:15] offset0:56 offset1:166
	;; [unrolled: 2-line block ×3, first 2 shown]
	s_waitcnt vmcnt(0)
	ds_write_b64 v0, v[30:31] offset:7040
.LBB0_13:
	s_or_b64 exec, exec, s[4:5]
	v_lshlrev_b32_e32 v25, 3, v24
	v_add_u32_e32 v32, 0, v25
	v_add_u32_e32 v0, 0x800, v32
	s_load_dwordx2 s[4:5], s[2:3], 0x0
	s_waitcnt lgkmcnt(0)
	s_barrier
	ds_read2_b64 v[4:7], v32 offset1:110
	ds_read2_b64 v[0:3], v0 offset0:184 offset1:239
	v_add_u32_e32 v8, 0x1000, v32
	v_add_u32_e32 v12, 0x400, v32
	;; [unrolled: 1-line block ×3, first 2 shown]
	ds_read2_b64 v[8:11], v8 offset0:93 offset1:203
	s_waitcnt lgkmcnt(1)
	v_sub_f32_e32 v16, v4, v2
	v_sub_f32_e32 v17, v5, v3
	v_fma_f32 v18, v4, 2.0, -v16
	v_fma_f32 v19, v5, 2.0, -v17
	ds_read2_b64 v[2:5], v12 offset0:92 offset1:202
	ds_read2_b64 v[12:15], v13 offset0:57 offset1:167
	v_add_u32_e32 v27, v32, v25
	s_waitcnt lgkmcnt(2)
	v_sub_f32_e32 v8, v6, v8
	v_sub_f32_e32 v9, v7, v9
	s_waitcnt lgkmcnt(1)
	v_sub_f32_e32 v10, v2, v10
	v_sub_f32_e32 v11, v3, v11
	;; [unrolled: 3-line block ×3, first 2 shown]
	s_barrier
	ds_write2_b64 v27, v[18:19], v[16:17] offset1:1
	v_fma_f32 v6, v6, 2.0, -v8
	v_fma_f32 v7, v7, 2.0, -v9
	;; [unrolled: 1-line block ×6, first 2 shown]
	v_sub_f32_e32 v4, v0, v14
	v_sub_f32_e32 v5, v1, v15
	v_lshl_add_u32 v30, v26, 4, 0
	v_lshl_add_u32 v34, v29, 4, 0
	;; [unrolled: 1-line block ×3, first 2 shown]
	v_cmp_gt_u32_e32 vcc, 55, v24
	ds_write2_b64 v30, v[6:7], v[8:9] offset1:1
	ds_write2_b64 v34, v[2:3], v[10:11] offset1:1
	;; [unrolled: 1-line block ×3, first 2 shown]
	s_and_saveexec_b64 s[2:3], vcc
	s_cbranch_execz .LBB0_15
; %bb.14:
	s_movk_i32 s6, 0x1b80
	v_fma_f32 v1, v1, 2.0, -v5
	v_fma_f32 v0, v0, 2.0, -v4
	v_add3_u32 v2, v32, v25, s6
	ds_write2_b64 v2, v[0:1], v[4:5] offset1:1
.LBB0_15:
	s_or_b64 exec, exec, s[2:3]
	v_and_b32_e32 v19, 1, v24
	v_lshlrev_b32_e32 v0, 4, v19
	s_waitcnt lgkmcnt(0)
	s_barrier
	global_load_dwordx4 v[0:3], v0, s[12:13]
	v_add_u32_e32 v31, 0x1400, v32
	v_add_u32_e32 v10, 0xc00, v32
	ds_read2_b64 v[6:9], v31 offset0:20 offset1:130
	ds_read2_b64 v[11:14], v10 offset0:56 offset1:166
	v_lshlrev_b32_e32 v50, 3, v26
	v_lshlrev_b32_e32 v27, 3, v28
	v_lshrrev_b32_e32 v15, 1, v24
	v_lshlrev_b32_e32 v35, 3, v29
	v_lshrrev_b32_e32 v16, 1, v26
	v_sub_u32_e32 v43, v30, v50
	v_sub_u32_e32 v42, v33, v27
	v_mul_u32_u24_e32 v44, 6, v15
	v_sub_u32_e32 v46, v34, v35
	v_mul_lo_u32 v45, v16, 6
	ds_read_b64 v[15:16], v43
	ds_read_b64 v[17:18], v42
	ds_read_b64 v[36:37], v32 offset:7040
	ds_read_b64 v[38:39], v32
	ds_read_b64 v[40:41], v46
	v_or_b32_e32 v44, v44, v19
	v_lshl_add_u32 v44, v44, 3, 0
	v_or_b32_e32 v45, v45, v19
	s_waitcnt vmcnt(0) lgkmcnt(0)
	s_barrier
	v_lshl_add_u32 v45, v45, 3, 0
	s_movk_i32 s2, 0xab
	v_mul_f32_e32 v47, v3, v7
	v_mul_f32_e32 v48, v3, v6
	;; [unrolled: 1-line block ×12, first 2 shown]
	v_fma_f32 v3, v2, v6, -v47
	v_fmac_f32_e32 v48, v2, v7
	v_fmac_f32_e32 v14, v1, v13
	v_fma_f32 v1, v0, v17, -v55
	v_fmac_f32_e32 v56, v0, v18
	v_fma_f32 v6, v2, v8, -v49
	v_fmac_f32_e32 v51, v2, v9
	v_fma_f32 v7, v0, v11, -v52
	v_fmac_f32_e32 v53, v0, v12
	v_fma_f32 v12, v2, v36, -v57
	v_fmac_f32_e32 v58, v2, v37
	v_add_f32_e32 v2, v56, v48
	v_add_f32_e32 v9, v1, v3
	v_fma_f32 v11, v0, v13, -v54
	v_add_f32_e32 v0, v39, v56
	v_add_f32_e32 v8, v38, v1
	;; [unrolled: 1-line block ×5, first 2 shown]
	v_fma_f32 v38, -0.5, v9, v38
	v_fmac_f32_e32 v39, -0.5, v2
	v_sub_f32_e32 v13, v56, v48
	v_sub_f32_e32 v17, v1, v3
	v_add_f32_e32 v36, v16, v53
	v_sub_f32_e32 v52, v7, v6
	v_add_f32_e32 v2, v47, v6
	v_fma_f32 v15, -0.5, v49, v15
	v_fmac_f32_e32 v16, -0.5, v37
	v_mov_b32_e32 v6, v38
	v_mov_b32_e32 v7, v39
	v_sub_f32_e32 v18, v53, v51
	v_add_f32_e32 v1, v0, v48
	v_add_f32_e32 v0, v8, v3
	v_fmac_f32_e32 v38, 0xbf5db3d7, v13
	v_fmac_f32_e32 v39, 0x3f5db3d7, v17
	v_mov_b32_e32 v8, v15
	v_mov_b32_e32 v9, v16
	v_fmac_f32_e32 v6, 0x3f5db3d7, v13
	v_fmac_f32_e32 v7, 0xbf5db3d7, v17
	v_add_f32_e32 v3, v36, v51
	ds_write_b64 v44, v[38:39] offset:32
	v_fmac_f32_e32 v8, 0x3f5db3d7, v18
	v_fmac_f32_e32 v9, 0xbf5db3d7, v52
	ds_write2_b64 v44, v[0:1], v[6:7] offset1:2
	ds_write2_b64 v45, v[2:3], v[8:9] offset1:2
	v_lshrrev_b32_e32 v2, 1, v29
	v_mul_lo_u32 v2, v2, 6
	v_add_f32_e32 v1, v11, v12
	v_add_f32_e32 v3, v14, v58
	;; [unrolled: 1-line block ×3, first 2 shown]
	v_fma_f32 v40, -0.5, v1, v40
	v_add_f32_e32 v1, v41, v14
	v_fmac_f32_e32 v41, -0.5, v3
	v_sub_f32_e32 v6, v14, v58
	v_sub_f32_e32 v7, v11, v12
	v_or_b32_e32 v8, v2, v19
	v_mov_b32_e32 v2, v40
	v_mov_b32_e32 v3, v41
	v_fmac_f32_e32 v15, 0xbf5db3d7, v18
	v_fmac_f32_e32 v16, 0x3f5db3d7, v52
	v_add_f32_e32 v0, v0, v12
	v_add_f32_e32 v1, v1, v58
	v_fmac_f32_e32 v2, 0x3f5db3d7, v6
	v_fmac_f32_e32 v3, 0xbf5db3d7, v7
	v_lshl_add_u32 v8, v8, 3, 0
	ds_write_b64 v45, v[15:16] offset:32
	ds_write2_b64 v8, v[0:1], v[2:3] offset1:2
	v_mul_lo_u16_sdwa v0, v24, s2 dst_sel:DWORD dst_unused:UNUSED_PAD src0_sel:BYTE_0 src1_sel:DWORD
	v_lshrrev_b16_e32 v19, 10, v0
	v_mul_lo_u16_e32 v0, 6, v19
	v_sub_u16_e32 v51, v24, v0
	v_mul_lo_u16_sdwa v0, v26, s2 dst_sel:DWORD dst_unused:UNUSED_PAD src0_sel:BYTE_0 src1_sel:DWORD
	v_lshrrev_b16_e32 v52, 10, v0
	v_mul_lo_u16_e32 v0, 6, v52
	v_sub_u16_e32 v53, v26, v0
	v_mov_b32_e32 v0, 4
	v_fmac_f32_e32 v40, 0xbf5db3d7, v6
	v_fmac_f32_e32 v41, 0x3f5db3d7, v7
	v_lshlrev_b32_sdwa v1, v0, v51 dst_sel:DWORD dst_unused:UNUSED_PAD src0_sel:DWORD src1_sel:BYTE_0
	v_lshlrev_b32_sdwa v0, v0, v53 dst_sel:DWORD dst_unused:UNUSED_PAD src0_sel:DWORD src1_sel:BYTE_0
	s_mov_b32 s2, 0xaaab
	ds_write_b64 v8, v[40:41] offset:32
	s_waitcnt lgkmcnt(0)
	s_barrier
	global_load_dwordx4 v[6:9], v1, s[12:13] offset:32
	global_load_dwordx4 v[11:14], v0, s[12:13] offset:32
	v_mul_u32_u24_sdwa v0, v29, s2 dst_sel:DWORD dst_unused:UNUSED_PAD src0_sel:WORD_0 src1_sel:DWORD
	v_lshrrev_b32_e32 v54, 18, v0
	v_mul_lo_u16_e32 v0, 6, v54
	v_sub_u16_e32 v55, v29, v0
	v_lshlrev_b32_e32 v0, 4, v55
	global_load_dwordx4 v[15:18], v0, s[12:13] offset:32
	ds_read_b64 v[0:1], v43
	ds_read2_b64 v[36:39], v31 offset0:20 offset1:130
	ds_read_b64 v[44:45], v42
	ds_read2_b64 v[40:43], v10 offset0:56 offset1:166
	ds_read_b64 v[2:3], v46
	ds_read_b64 v[46:47], v32 offset:7040
	ds_read_b64 v[48:49], v32
	s_waitcnt vmcnt(0) lgkmcnt(0)
	s_barrier
	s_movk_i32 s2, 0x58
	v_cmp_gt_u32_e64 s[2:3], s2, v24
	v_mul_f32_e32 v31, v7, v45
	v_mul_f32_e32 v56, v7, v44
	;; [unrolled: 1-line block ×4, first 2 shown]
	v_fma_f32 v31, v6, v44, -v31
	v_fma_f32 v36, v8, v36, -v7
	v_fmac_f32_e32 v56, v6, v45
	v_fmac_f32_e32 v9, v8, v37
	v_add_f32_e32 v6, v48, v31
	v_add_f32_e32 v7, v31, v36
	v_mul_f32_e32 v57, v14, v39
	v_mul_f32_e32 v14, v14, v38
	;; [unrolled: 1-line block ×8, first 2 shown]
	v_fma_f32 v48, -0.5, v7, v48
	v_add_f32_e32 v6, v6, v36
	v_add_f32_e32 v7, v49, v56
	;; [unrolled: 1-line block ×3, first 2 shown]
	v_sub_f32_e32 v36, v31, v36
	v_mov_b32_e32 v31, 3
	v_fma_f32 v37, v13, v38, -v57
	v_fmac_f32_e32 v14, v13, v39
	v_fma_f32 v13, v11, v40, -v58
	v_fmac_f32_e32 v12, v11, v41
	v_fma_f32 v11, v15, v42, -v59
	v_fmac_f32_e32 v16, v15, v43
	v_fma_f32 v15, v46, v17, -v60
	v_fmac_f32_e32 v18, v47, v17
	v_add_f32_e32 v7, v7, v9
	v_sub_f32_e32 v17, v56, v9
	v_fmac_f32_e32 v49, -0.5, v8
	v_mul_u32_u24_e32 v8, 0x90, v19
	v_lshlrev_b32_sdwa v9, v31, v51 dst_sel:DWORD dst_unused:UNUSED_PAD src0_sel:DWORD src1_sel:BYTE_0
	v_add3_u32 v19, 0, v8, v9
	v_mov_b32_e32 v8, v48
	v_mov_b32_e32 v9, v49
	v_fmac_f32_e32 v8, 0x3f5db3d7, v17
	v_fmac_f32_e32 v9, 0xbf5db3d7, v36
	ds_write2_b64 v19, v[6:7], v[8:9] offset1:6
	v_add_f32_e32 v7, v13, v37
	v_add_f32_e32 v8, v12, v14
	;; [unrolled: 1-line block ×3, first 2 shown]
	v_fma_f32 v0, -0.5, v7, v0
	v_add_f32_e32 v7, v1, v12
	v_fmac_f32_e32 v1, -0.5, v8
	v_mul_u32_u24_e32 v8, 0x90, v52
	v_lshlrev_b32_sdwa v9, v31, v53 dst_sel:DWORD dst_unused:UNUSED_PAD src0_sel:DWORD src1_sel:BYTE_0
	v_fmac_f32_e32 v48, 0xbf5db3d7, v17
	v_sub_f32_e32 v17, v12, v14
	v_sub_f32_e32 v12, v13, v37
	v_add3_u32 v13, 0, v8, v9
	v_mov_b32_e32 v8, v0
	v_mov_b32_e32 v9, v1
	v_fmac_f32_e32 v49, 0x3f5db3d7, v36
	v_add_f32_e32 v6, v6, v37
	v_add_f32_e32 v7, v7, v14
	v_fmac_f32_e32 v8, 0x3f5db3d7, v17
	v_fmac_f32_e32 v9, 0xbf5db3d7, v12
	ds_write_b64 v19, v[48:49] offset:96
	ds_write2_b64 v13, v[6:7], v[8:9] offset1:6
	v_add_f32_e32 v7, v11, v15
	v_add_f32_e32 v6, v2, v11
	v_fma_f32 v2, -0.5, v7, v2
	v_mov_b32_e32 v8, v2
	v_sub_f32_e32 v7, v16, v18
	v_add_f32_e32 v9, v16, v18
	v_fmac_f32_e32 v8, 0x3f5db3d7, v7
	v_fmac_f32_e32 v2, 0xbf5db3d7, v7
	v_add_f32_e32 v7, v3, v16
	v_fmac_f32_e32 v3, -0.5, v9
	v_sub_f32_e32 v11, v11, v15
	v_mov_b32_e32 v9, v3
	v_fmac_f32_e32 v1, 0x3f5db3d7, v12
	v_fmac_f32_e32 v9, 0xbf5db3d7, v11
	;; [unrolled: 1-line block ×3, first 2 shown]
	v_mul_u32_u24_e32 v11, 0x90, v54
	v_lshlrev_b32_e32 v12, 3, v55
	v_fmac_f32_e32 v0, 0xbf5db3d7, v17
	v_add_f32_e32 v6, v6, v15
	v_add_f32_e32 v7, v7, v18
	v_add3_u32 v11, 0, v11, v12
	ds_write_b64 v13, v[0:1] offset:96
	ds_write2_b64 v11, v[6:7], v[8:9] offset1:6
	ds_write_b64 v11, v[2:3] offset:96
	s_waitcnt lgkmcnt(0)
	s_barrier
	ds_read_b64 v[18:19], v32 offset:6336
	ds_read2_b64 v[14:17], v10 offset0:12 offset1:210
	ds_read2_b64 v[10:13], v32 offset1:198
	v_sub_u32_e32 v36, 0, v50
	v_add_u32_e32 v36, v30, v36
	s_and_saveexec_b64 s[6:7], s[2:3]
	s_cbranch_execz .LBB0_17
; %bb.16:
	v_add_u32_e32 v2, 0x800, v32
	ds_read2_b64 v[6:9], v2 offset0:52 offset1:250
	v_add_u32_e32 v2, 0x1600, v32
	ds_read_b64 v[0:1], v36
	ds_read2_b64 v[2:5], v2 offset1:198
.LBB0_17:
	s_or_b64 exec, exec, s[6:7]
	v_mov_b32_e32 v42, 57
	v_mul_lo_u16_sdwa v30, v26, v42 dst_sel:DWORD dst_unused:UNUSED_PAD src0_sel:BYTE_0 src1_sel:DWORD
	v_lshrrev_b16_e32 v30, 10, v30
	v_mul_lo_u16_sdwa v42, v24, v42 dst_sel:DWORD dst_unused:UNUSED_PAD src0_sel:BYTE_0 src1_sel:DWORD
	v_mul_lo_u16_e32 v37, 18, v30
	v_lshrrev_b16_e32 v55, 10, v42
	v_mov_b32_e32 v43, 5
	v_sub_u16_e32 v37, v26, v37
	v_mul_lo_u16_e32 v42, 18, v55
	v_lshlrev_b32_sdwa v54, v43, v37 dst_sel:DWORD dst_unused:UNUSED_PAD src0_sel:DWORD src1_sel:BYTE_0
	v_sub_u16_e32 v56, v24, v42
	global_load_dwordx4 v[38:41], v54, s[12:13] offset:128
	v_lshlrev_b32_sdwa v57, v43, v56 dst_sel:DWORD dst_unused:UNUSED_PAD src0_sel:DWORD src1_sel:BYTE_0
	global_load_dwordx4 v[42:45], v57, s[12:13] offset:144
	global_load_dwordx4 v[46:49], v57, s[12:13] offset:128
	;; [unrolled: 1-line block ×3, first 2 shown]
	v_lshlrev_b32_sdwa v31, v31, v56 dst_sel:DWORD dst_unused:UNUSED_PAD src0_sel:DWORD src1_sel:BYTE_0
	s_waitcnt vmcnt(0) lgkmcnt(0)
	s_barrier
	v_mul_f32_e32 v58, v43, v17
	v_mul_f32_e32 v54, v7, v39
	;; [unrolled: 1-line block ×11, first 2 shown]
	v_fma_f32 v54, v6, v38, -v54
	v_fmac_f32_e32 v39, v7, v38
	v_fma_f32 v38, v8, v40, -v57
	v_fma_f32 v6, v42, v16, -v58
	v_fmac_f32_e32 v43, v42, v17
	v_fma_f32 v16, v44, v18, -v59
	;; [unrolled: 3-line block ×3, first 2 shown]
	v_mul_f32_e32 v45, v45, v18
	v_mul_f32_e32 v62, v3, v51
	;; [unrolled: 1-line block ×3, first 2 shown]
	v_fmac_f32_e32 v41, v9, v40
	v_fmac_f32_e32 v47, v46, v13
	v_sub_f32_e32 v9, v7, v8
	v_sub_f32_e32 v13, v6, v16
	v_add_f32_e32 v15, v49, v43
	v_mul_f32_e32 v63, v5, v53
	v_fmac_f32_e32 v45, v44, v19
	v_fma_f32 v19, v2, v50, -v62
	v_fmac_f32_e32 v51, v3, v50
	v_add_f32_e32 v2, v10, v8
	v_add_f32_e32 v3, v7, v6
	;; [unrolled: 1-line block ×5, first 2 shown]
	v_fma_f32 v9, -0.5, v15, v11
	v_mul_f32_e32 v53, v4, v53
	v_fma_f32 v17, v4, v52, -v63
	v_sub_f32_e32 v4, v8, v7
	v_sub_f32_e32 v18, v8, v16
	;; [unrolled: 1-line block ×3, first 2 shown]
	v_add_f32_e32 v2, v2, v7
	v_fma_f32 v8, -0.5, v3, v10
	v_add_f32_e32 v3, v14, v49
	v_fma_f32 v14, -0.5, v12, v10
	v_mov_b32_e32 v7, v9
	v_fmac_f32_e32 v53, v5, v52
	v_sub_f32_e32 v5, v16, v6
	v_sub_f32_e32 v42, v47, v49
	;; [unrolled: 1-line block ×4, first 2 shown]
	v_add_f32_e32 v2, v2, v6
	v_mov_b32_e32 v12, v14
	v_fmac_f32_e32 v9, 0x3f737871, v18
	v_fmac_f32_e32 v7, 0xbf737871, v18
	v_sub_f32_e32 v46, v47, v45
	v_add_f32_e32 v50, v4, v5
	v_add_f32_e32 v15, v42, v44
	v_fmac_f32_e32 v14, 0x3f737871, v48
	v_add_f32_e32 v4, v2, v16
	v_fmac_f32_e32 v12, 0xbf737871, v48
	v_fmac_f32_e32 v7, 0xbf167918, v40
	;; [unrolled: 1-line block ×3, first 2 shown]
	v_add_f32_e32 v2, v47, v45
	v_fmac_f32_e32 v14, 0xbf167918, v46
	v_fmac_f32_e32 v12, 0x3f167918, v46
	;; [unrolled: 1-line block ×4, first 2 shown]
	v_fma_f32 v15, -0.5, v2, v11
	v_add_f32_e32 v3, v3, v43
	v_fmac_f32_e32 v14, 0x3e9e377a, v13
	v_fmac_f32_e32 v12, 0x3e9e377a, v13
	v_mov_b32_e32 v13, v15
	v_add_f32_e32 v5, v3, v45
	v_fmac_f32_e32 v13, 0x3f737871, v40
	v_sub_f32_e32 v2, v49, v47
	v_sub_f32_e32 v3, v43, v45
	v_fmac_f32_e32 v15, 0xbf737871, v40
	v_fmac_f32_e32 v13, 0xbf167918, v18
	v_add_f32_e32 v2, v2, v3
	v_fmac_f32_e32 v15, 0x3f167918, v18
	v_fmac_f32_e32 v13, 0x3e9e377a, v2
	;; [unrolled: 1-line block ×3, first 2 shown]
	v_add_f32_e32 v2, v0, v54
	v_add_f32_e32 v2, v2, v38
	;; [unrolled: 1-line block ×5, first 2 shown]
	v_fma_f32 v2, -0.5, v2, v0
	v_sub_f32_e32 v3, v39, v53
	v_mov_b32_e32 v16, v2
	v_fmac_f32_e32 v16, 0x3f737871, v3
	v_sub_f32_e32 v11, v41, v51
	v_sub_f32_e32 v18, v54, v38
	;; [unrolled: 1-line block ×3, first 2 shown]
	v_fmac_f32_e32 v2, 0xbf737871, v3
	v_fmac_f32_e32 v16, 0x3f167918, v11
	v_add_f32_e32 v18, v18, v40
	v_fmac_f32_e32 v2, 0xbf167918, v11
	v_fmac_f32_e32 v16, 0x3e9e377a, v18
	;; [unrolled: 1-line block ×3, first 2 shown]
	v_add_f32_e32 v18, v54, v17
	v_fmac_f32_e32 v0, -0.5, v18
	v_mov_b32_e32 v18, v0
	v_fmac_f32_e32 v18, 0xbf737871, v11
	v_fmac_f32_e32 v0, 0x3f737871, v11
	;; [unrolled: 1-line block ×4, first 2 shown]
	v_add_f32_e32 v3, v1, v39
	v_add_f32_e32 v3, v3, v41
	;; [unrolled: 1-line block ×3, first 2 shown]
	v_sub_f32_e32 v40, v38, v54
	v_sub_f32_e32 v42, v19, v17
	v_add_f32_e32 v11, v3, v53
	v_add_f32_e32 v3, v41, v51
	;; [unrolled: 1-line block ×3, first 2 shown]
	v_fma_f32 v3, -0.5, v3, v1
	v_fmac_f32_e32 v18, 0x3e9e377a, v40
	v_fmac_f32_e32 v0, 0x3e9e377a, v40
	v_sub_f32_e32 v40, v54, v17
	v_mov_b32_e32 v17, v3
	v_fmac_f32_e32 v17, 0xbf737871, v40
	v_sub_f32_e32 v38, v38, v19
	v_sub_f32_e32 v19, v39, v41
	;; [unrolled: 1-line block ×3, first 2 shown]
	v_fmac_f32_e32 v3, 0x3f737871, v40
	v_fmac_f32_e32 v17, 0xbf167918, v38
	v_add_f32_e32 v19, v19, v42
	v_fmac_f32_e32 v3, 0x3f167918, v38
	v_fmac_f32_e32 v17, 0x3e9e377a, v19
	;; [unrolled: 1-line block ×3, first 2 shown]
	v_add_f32_e32 v19, v39, v53
	v_fmac_f32_e32 v1, -0.5, v19
	v_mov_b32_e32 v6, v8
	v_mov_b32_e32 v19, v1
	v_fmac_f32_e32 v8, 0xbf737871, v46
	v_fmac_f32_e32 v6, 0x3f737871, v46
	;; [unrolled: 1-line block ×3, first 2 shown]
	v_sub_f32_e32 v39, v41, v39
	v_sub_f32_e32 v41, v51, v53
	v_fmac_f32_e32 v1, 0xbf737871, v38
	v_fmac_f32_e32 v8, 0xbf167918, v48
	;; [unrolled: 1-line block ×4, first 2 shown]
	v_add_f32_e32 v39, v39, v41
	v_fmac_f32_e32 v1, 0x3f167918, v40
	v_mul_u32_u24_e32 v38, 0x2d0, v55
	v_fmac_f32_e32 v8, 0x3e9e377a, v50
	v_fmac_f32_e32 v6, 0x3e9e377a, v50
	;; [unrolled: 1-line block ×4, first 2 shown]
	v_add3_u32 v31, 0, v38, v31
	ds_write2_b64 v31, v[4:5], v[6:7] offset1:18
	ds_write2_b64 v31, v[12:13], v[14:15] offset0:36 offset1:54
	ds_write_b64 v31, v[8:9] offset:576
	s_and_saveexec_b64 s[6:7], s[2:3]
	s_cbranch_execz .LBB0_19
; %bb.18:
	v_mov_b32_e32 v31, 3
	v_mul_u32_u24_e32 v30, 0x2d0, v30
	v_lshlrev_b32_sdwa v31, v31, v37 dst_sel:DWORD dst_unused:UNUSED_PAD src0_sel:DWORD src1_sel:BYTE_0
	v_add3_u32 v30, 0, v30, v31
	ds_write2_b64 v30, v[10:11], v[16:17] offset1:18
	ds_write2_b64 v30, v[18:19], v[0:1] offset0:36 offset1:54
	ds_write_b64 v30, v[2:3] offset:576
.LBB0_19:
	s_or_b64 exec, exec, s[6:7]
	s_movk_i32 s2, 0x5a
	v_cmp_gt_u32_e64 s[2:3], s2, v24
	s_waitcnt lgkmcnt(0)
	s_barrier
	s_waitcnt lgkmcnt(0)
                                        ; implicit-def: $vgpr31
	s_and_saveexec_b64 s[6:7], s[2:3]
	s_cbranch_execz .LBB0_21
; %bb.20:
	v_add_u32_e32 v0, 0x400, v32
	ds_read2_b64 v[12:15], v0 offset0:52 offset1:142
	v_add_u32_e32 v0, 0x800, v32
	ds_read2_b64 v[8:11], v0 offset0:104 offset1:194
	;; [unrolled: 2-line block ×3, first 2 shown]
	v_add_u32_e32 v0, 0x1400, v32
	ds_read2_b64 v[4:7], v32 offset1:90
	ds_read2_b64 v[0:3], v0 offset0:80 offset1:170
	ds_read_b64 v[30:31], v32 offset:7200
.LBB0_21:
	s_or_b64 exec, exec, s[6:7]
	s_waitcnt lgkmcnt(0)
	s_barrier
	s_and_saveexec_b64 s[6:7], s[2:3]
	s_cbranch_execz .LBB0_23
; %bb.22:
	v_add_u32_e32 v37, 0xffffffa6, v24
	v_cndmask_b32_e64 v37, v37, v24, s[2:3]
	v_mul_i32_i24_e32 v37, 10, v37
	v_mov_b32_e32 v38, 0
	v_lshlrev_b64 v[37:38], 3, v[37:38]
	v_mov_b32_e32 v39, s13
	v_add_co_u32_e64 v57, s[2:3], s12, v37
	v_addc_co_u32_e64 v58, s[2:3], v39, v38, s[2:3]
	global_load_dwordx4 v[37:40], v[57:58], off offset:768
	global_load_dwordx4 v[41:44], v[57:58], off offset:704
	global_load_dwordx4 v[45:48], v[57:58], off offset:752
	global_load_dwordx4 v[49:52], v[57:58], off offset:720
	global_load_dwordx4 v[53:56], v[57:58], off offset:736
	s_mov_b32 s2, 0xbf75a155
	s_mov_b32 s3, 0x3f575c64
	;; [unrolled: 1-line block ×5, first 2 shown]
	s_waitcnt vmcnt(4)
	v_mul_f32_e32 v57, v30, v40
	s_waitcnt vmcnt(3)
	v_mul_f32_e32 v58, v6, v42
	v_mul_f32_e32 v40, v31, v40
	;; [unrolled: 1-line block ×4, first 2 shown]
	v_fmac_f32_e32 v58, v7, v41
	v_fmac_f32_e32 v57, v31, v39
	v_mul_f32_e32 v42, v7, v42
	s_waitcnt vmcnt(2)
	v_mul_f32_e32 v61, v0, v48
	s_waitcnt vmcnt(1)
	;; [unrolled: 2-line block ×3, first 2 shown]
	v_mul_f32_e32 v65, v16, v56
	v_mul_f32_e32 v66, v10, v54
	v_mul_f32_e32 v54, v11, v54
	v_fmac_f32_e32 v60, v13, v43
	v_fma_f32 v30, v30, v39, -v40
	v_fmac_f32_e32 v59, v3, v37
	v_add_f32_e32 v39, v58, v57
	v_mul_f32_e32 v44, v13, v44
	v_mul_f32_e32 v38, v3, v38
	;; [unrolled: 1-line block ×7, first 2 shown]
	v_fma_f32 v41, v6, v41, -v42
	v_fmac_f32_e32 v61, v1, v47
	v_fmac_f32_e32 v62, v15, v49
	;; [unrolled: 1-line block ×3, first 2 shown]
	v_fma_f32 v17, v10, v53, -v54
	v_add_f32_e32 v40, v60, v59
	v_mul_f32_e32 v10, 0xbe11bafb, v39
	v_mul_f32_e32 v46, v19, v46
	v_fma_f32 v42, v12, v43, -v44
	v_fma_f32 v31, v2, v37, -v38
	;; [unrolled: 1-line block ×4, first 2 shown]
	v_fmac_f32_e32 v63, v19, v45
	v_fmac_f32_e32 v64, v9, v51
	;; [unrolled: 1-line block ×3, first 2 shown]
	v_sub_f32_e32 v14, v41, v30
	v_add_f32_e32 v43, v62, v61
	v_mul_f32_e32 v11, 0xbf75a155, v40
	v_mov_b32_e32 v0, v10
	v_mul_f32_e32 v52, v9, v52
	v_fma_f32 v18, v18, v45, -v46
	v_sub_f32_e32 v15, v42, v31
	v_add_f32_e32 v45, v64, v63
	v_mul_f32_e32 v12, 0x3ed4b147, v43
	v_mov_b32_e32 v1, v11
	v_fmac_f32_e32 v0, 0x3f7d64f0, v14
	v_fma_f32 v19, v8, v51, -v52
	v_sub_f32_e32 v44, v37, v38
	v_add_f32_e32 v47, v66, v65
	v_sub_f32_e32 v50, v58, v57
	v_mul_f32_e32 v13, 0x3f575c64, v45
	v_mov_b32_e32 v2, v12
	v_fmac_f32_e32 v1, 0xbe903f40, v15
	v_add_f32_e32 v0, v5, v0
	v_fma_f32 v16, v16, v55, -v56
	v_sub_f32_e32 v46, v19, v18
	v_sub_f32_e32 v52, v60, v59
	v_mul_f32_e32 v54, 0xbf27a4f4, v47
	v_mul_f32_e32 v55, 0xbf7d64f0, v50
	v_mov_b32_e32 v3, v13
	v_fmac_f32_e32 v2, 0xbf68dda4, v44
	v_add_f32_e32 v0, v1, v0
	v_sub_f32_e32 v48, v17, v16
	v_add_f32_e32 v49, v41, v30
	v_mul_f32_e32 v56, 0x3e903f40, v52
	v_mov_b32_e32 v6, v54
	v_mov_b32_e32 v7, v55
	v_fmac_f32_e32 v3, 0x3f0a6770, v46
	v_add_f32_e32 v0, v2, v0
	v_sub_f32_e32 v67, v62, v61
	v_add_f32_e32 v51, v42, v31
	v_mov_b32_e32 v8, v56
	v_fmac_f32_e32 v6, 0x3f4178ce, v48
	v_fmac_f32_e32 v7, 0xbe11bafb, v49
	v_add_f32_e32 v0, v3, v0
	v_mul_f32_e32 v68, 0x3f68dda4, v67
	v_sub_f32_e32 v70, v64, v63
	v_add_f32_e32 v53, v37, v38
	v_fmac_f32_e32 v8, 0xbf75a155, v51
	v_add_f32_e32 v7, v4, v7
	v_add_f32_e32 v1, v6, v0
	v_mov_b32_e32 v0, v68
	v_mul_f32_e32 v71, 0xbf0a6770, v70
	v_add_f32_e32 v7, v8, v7
	v_fmac_f32_e32 v0, 0x3ed4b147, v53
	v_add_f32_e32 v69, v19, v18
	v_mov_b32_e32 v2, v71
	v_sub_f32_e32 v73, v66, v65
	v_add_f32_e32 v0, v0, v7
	v_fmac_f32_e32 v2, 0x3f575c64, v69
	v_mul_f32_e32 v74, 0xbf4178ce, v73
	v_add_f32_e32 v0, v2, v0
	v_add_f32_e32 v72, v17, v16
	v_mov_b32_e32 v2, v74
	v_fmac_f32_e32 v2, 0xbf27a4f4, v72
	v_mul_f32_e32 v6, 0xbf75a155, v39
	v_add_f32_e32 v0, v2, v0
	v_mov_b32_e32 v2, v6
	v_mul_f32_e32 v7, 0x3f575c64, v40
	v_fmac_f32_e32 v2, 0x3e903f40, v14
	v_mov_b32_e32 v3, v7
	v_add_f32_e32 v2, v5, v2
	v_fmac_f32_e32 v3, 0xbf0a6770, v15
	v_mul_f32_e32 v8, 0xbf27a4f4, v43
	v_add_f32_e32 v2, v3, v2
	v_mov_b32_e32 v3, v8
	v_fmac_f32_e32 v3, 0x3f4178ce, v44
	v_mul_f32_e32 v9, 0x3ed4b147, v45
	v_add_f32_e32 v2, v3, v2
	v_mov_b32_e32 v3, v9
	;; [unrolled: 4-line block ×3, first 2 shown]
	v_mul_f32_e32 v76, 0x3f0a6770, v52
	v_fmac_f32_e32 v3, 0xbf75a155, v49
	v_mov_b32_e32 v77, v76
	v_add_f32_e32 v3, v4, v3
	v_fmac_f32_e32 v77, 0x3f575c64, v51
	v_add_f32_e32 v3, v77, v3
	v_mul_f32_e32 v77, 0xbf4178ce, v67
	v_mov_b32_e32 v78, v77
	v_fmac_f32_e32 v6, 0xbe903f40, v14
	v_fmac_f32_e32 v78, 0xbf27a4f4, v53
	v_add_f32_e32 v6, v5, v6
	v_fmac_f32_e32 v7, 0x3f0a6770, v15
	v_add_f32_e32 v3, v78, v3
	v_mul_f32_e32 v78, 0x3f68dda4, v70
	v_add_f32_e32 v6, v7, v6
	v_fmac_f32_e32 v8, 0xbf4178ce, v44
	v_fma_f32 v7, v49, s2, -v75
	v_mov_b32_e32 v79, v78
	v_add_f32_e32 v6, v8, v6
	v_add_f32_e32 v7, v4, v7
	v_fma_f32 v8, v51, s3, -v76
	v_fmac_f32_e32 v79, 0x3ed4b147, v69
	v_mul_f32_e32 v80, 0xbe11bafb, v47
	v_fmac_f32_e32 v9, 0x3f68dda4, v46
	v_add_f32_e32 v7, v8, v7
	v_fma_f32 v8, v53, s8, -v77
	v_add_f32_e32 v79, v79, v3
	v_mov_b32_e32 v3, v80
	v_mul_f32_e32 v81, 0xbf7d64f0, v73
	v_add_f32_e32 v6, v9, v6
	v_add_f32_e32 v7, v8, v7
	v_fma_f32 v8, v69, s9, -v78
	v_fmac_f32_e32 v80, 0xbf7d64f0, v48
	v_add_f32_e32 v8, v8, v7
	v_add_f32_e32 v7, v80, v6
	v_fma_f32 v6, v72, s14, -v81
	v_mul_f32_e32 v75, 0xbf4178ce, v14
	v_add_f32_e32 v6, v6, v8
	v_mov_b32_e32 v8, v75
	v_mul_f32_e32 v76, 0x3f7d64f0, v15
	v_fmac_f32_e32 v8, 0xbf27a4f4, v39
	v_mov_b32_e32 v9, v76
	v_fmac_f32_e32 v10, 0xbf7d64f0, v14
	v_add_f32_e32 v8, v5, v8
	v_fmac_f32_e32 v9, 0xbe11bafb, v40
	v_mul_f32_e32 v77, 0xbf0a6770, v44
	v_add_f32_e32 v10, v5, v10
	v_fmac_f32_e32 v11, 0x3e903f40, v15
	v_fmac_f32_e32 v3, 0x3f7d64f0, v48
	v_add_f32_e32 v8, v9, v8
	v_mov_b32_e32 v9, v77
	v_add_f32_e32 v10, v11, v10
	v_fmac_f32_e32 v12, 0x3f68dda4, v44
	v_fma_f32 v11, v49, s14, -v55
	v_add_f32_e32 v3, v3, v2
	v_mov_b32_e32 v2, v81
	v_fmac_f32_e32 v9, 0x3f575c64, v43
	v_mul_f32_e32 v78, 0xbe903f40, v46
	v_add_f32_e32 v10, v12, v10
	v_add_f32_e32 v11, v4, v11
	v_fma_f32 v12, v51, s2, -v56
	v_fmac_f32_e32 v2, 0xbe11bafb, v72
	v_add_f32_e32 v8, v9, v8
	v_mov_b32_e32 v9, v78
	v_fmac_f32_e32 v13, 0xbf0a6770, v46
	v_add_f32_e32 v11, v12, v11
	v_fma_f32 v12, v53, s9, -v68
	v_add_f32_e32 v2, v2, v79
	v_fmac_f32_e32 v9, 0xbf75a155, v45
	v_mul_f32_e32 v79, 0xbf4178ce, v50
	v_add_f32_e32 v10, v13, v10
	v_add_f32_e32 v11, v12, v11
	v_fma_f32 v12, v69, s3, -v71
	v_fmac_f32_e32 v54, 0xbf4178ce, v48
	v_add_f32_e32 v8, v9, v8
	v_fma_f32 v9, v49, s8, -v79
	v_mul_f32_e32 v80, 0x3f7d64f0, v52
	v_add_f32_e32 v12, v12, v11
	v_add_f32_e32 v11, v54, v10
	v_fma_f32 v10, v72, s8, -v74
	v_mul_f32_e32 v54, 0xbf68dda4, v14
	v_add_f32_e32 v9, v4, v9
	v_fma_f32 v81, v51, s14, -v80
	v_add_f32_e32 v10, v10, v12
	v_mov_b32_e32 v12, v54
	v_mul_f32_e32 v55, 0xbf4178ce, v15
	v_add_f32_e32 v9, v81, v9
	v_mul_f32_e32 v81, 0xbf0a6770, v67
	v_fmac_f32_e32 v12, 0x3ed4b147, v39
	v_mov_b32_e32 v13, v55
	v_fma_f32 v82, v53, s3, -v81
	v_add_f32_e32 v12, v5, v12
	v_fmac_f32_e32 v13, 0xbf27a4f4, v40
	v_mul_f32_e32 v56, 0x3e903f40, v44
	v_add_f32_e32 v9, v82, v9
	v_mul_f32_e32 v82, 0xbe903f40, v70
	v_add_f32_e32 v12, v13, v12
	v_mov_b32_e32 v13, v56
	v_fma_f32 v83, v69, s2, -v82
	v_mul_f32_e32 v84, 0x3f68dda4, v48
	v_fmac_f32_e32 v13, 0xbf75a155, v43
	v_mul_f32_e32 v68, 0x3f7d64f0, v46
	v_add_f32_e32 v83, v83, v9
	v_mov_b32_e32 v9, v84
	v_add_f32_e32 v12, v13, v12
	v_mov_b32_e32 v13, v68
	v_fmac_f32_e32 v9, 0x3ed4b147, v47
	v_mul_f32_e32 v85, 0x3f68dda4, v73
	v_fmac_f32_e32 v13, 0xbe11bafb, v45
	v_mul_f32_e32 v71, 0xbf68dda4, v50
	v_add_f32_e32 v9, v9, v8
	v_fma_f32 v8, v72, s9, -v85
	v_add_f32_e32 v12, v13, v12
	v_fma_f32 v13, v49, s9, -v71
	v_mul_f32_e32 v74, 0xbf4178ce, v52
	v_add_f32_e32 v8, v8, v83
	v_add_f32_e32 v13, v4, v13
	v_fma_f32 v83, v51, s8, -v74
	v_add_f32_e32 v13, v83, v13
	v_mul_f32_e32 v83, 0x3e903f40, v67
	v_fma_f32 v86, v53, s2, -v83
	v_add_f32_e32 v13, v86, v13
	v_mul_f32_e32 v86, 0x3f7d64f0, v70
	v_fma_f32 v87, v69, s14, -v86
	v_mul_f32_e32 v88, 0x3f0a6770, v48
	v_add_f32_e32 v87, v87, v13
	v_mov_b32_e32 v13, v88
	v_fmac_f32_e32 v13, 0x3f575c64, v47
	v_mul_f32_e32 v89, 0x3f0a6770, v73
	v_add_f32_e32 v13, v13, v12
	v_fma_f32 v12, v72, s3, -v89
	v_add_f32_e32 v12, v12, v87
	v_mul_f32_e32 v87, 0xbf0a6770, v14
	v_mov_b32_e32 v14, v87
	v_mul_f32_e32 v90, 0xbf68dda4, v15
	v_add_f32_e32 v41, v4, v41
	v_fmac_f32_e32 v14, 0x3f575c64, v39
	v_mov_b32_e32 v15, v90
	v_add_f32_e32 v41, v41, v42
	v_add_f32_e32 v14, v5, v14
	v_fmac_f32_e32 v15, 0x3ed4b147, v40
	v_mul_f32_e32 v44, 0xbf7d64f0, v44
	v_add_f32_e32 v37, v41, v37
	v_add_f32_e32 v14, v15, v14
	v_mov_b32_e32 v15, v44
	v_add_f32_e32 v19, v37, v19
	v_fmac_f32_e32 v15, 0xbe11bafb, v43
	v_mul_f32_e32 v46, 0xbf4178ce, v46
	v_add_f32_e32 v17, v19, v17
	v_add_f32_e32 v14, v15, v14
	v_mov_b32_e32 v15, v46
	v_add_f32_e32 v58, v5, v58
	v_add_f32_e32 v16, v17, v16
	v_fmac_f32_e32 v15, 0xbf27a4f4, v45
	v_mul_f32_e32 v50, 0xbf0a6770, v50
	v_add_f32_e32 v58, v58, v60
	v_add_f32_e32 v16, v16, v18
	;; [unrolled: 1-line block ×3, first 2 shown]
	v_fma_f32 v15, v49, s3, -v50
	v_mul_f32_e32 v52, 0xbf68dda4, v52
	v_add_f32_e32 v58, v58, v62
	v_add_f32_e32 v16, v16, v38
	;; [unrolled: 1-line block ×3, first 2 shown]
	v_fma_f32 v91, v51, s9, -v52
	v_mul_f32_e32 v67, 0xbf7d64f0, v67
	v_add_f32_e32 v58, v58, v64
	v_add_f32_e32 v16, v16, v31
	v_fma_f32 v18, v39, s8, -v75
	v_add_f32_e32 v15, v91, v15
	v_fma_f32 v91, v53, s14, -v67
	v_mul_f32_e32 v70, 0xbf4178ce, v70
	v_add_f32_e32 v58, v58, v66
	v_add_f32_e32 v16, v16, v30
	;; [unrolled: 1-line block ×3, first 2 shown]
	v_fma_f32 v19, v40, s14, -v76
	v_fma_f32 v30, v39, s9, -v54
	v_add_f32_e32 v15, v91, v15
	v_fma_f32 v91, v69, s8, -v70
	v_mul_f32_e32 v48, 0xbe903f40, v48
	v_add_f32_e32 v58, v58, v65
	v_add_f32_e32 v18, v19, v18
	v_fma_f32 v19, v43, s3, -v77
	v_add_f32_e32 v30, v5, v30
	v_fma_f32 v31, v40, s8, -v55
	v_add_f32_e32 v91, v91, v15
	v_mov_b32_e32 v15, v48
	v_add_f32_e32 v58, v58, v63
	v_add_f32_e32 v18, v19, v18
	v_fma_f32 v19, v45, s2, -v78
	v_add_f32_e32 v30, v31, v30
	v_fma_f32 v31, v43, s2, -v56
	v_fmac_f32_e32 v15, 0xbf75a155, v47
	v_mul_f32_e32 v73, 0xbe903f40, v73
	v_add_f32_e32 v58, v58, v61
	v_add_f32_e32 v18, v19, v18
	v_fma_f32 v19, v47, s9, -v84
	v_fmac_f32_e32 v79, 0xbf27a4f4, v49
	v_add_f32_e32 v30, v31, v30
	v_fma_f32 v31, v45, s14, -v68
	v_add_f32_e32 v15, v15, v14
	v_fma_f32 v14, v72, s2, -v73
	v_add_f32_e32 v58, v58, v59
	v_add_f32_e32 v19, v19, v18
	;; [unrolled: 1-line block ×3, first 2 shown]
	v_fmac_f32_e32 v80, 0xbe11bafb, v51
	v_add_f32_e32 v30, v31, v30
	v_fma_f32 v31, v47, s3, -v88
	v_fmac_f32_e32 v71, 0x3ed4b147, v49
	v_add_f32_e32 v14, v14, v91
	v_add_f32_e32 v17, v58, v57
	;; [unrolled: 1-line block ×3, first 2 shown]
	v_fmac_f32_e32 v81, 0x3f575c64, v53
	v_add_f32_e32 v31, v31, v30
	v_add_f32_e32 v30, v4, v71
	v_fmac_f32_e32 v74, 0xbf27a4f4, v51
	v_fma_f32 v37, v39, s3, -v87
	v_fmac_f32_e32 v50, 0x3f575c64, v49
	v_add_f32_e32 v18, v81, v18
	v_fmac_f32_e32 v82, 0xbf75a155, v69
	v_add_f32_e32 v30, v74, v30
	;; [unrolled: 2-line block ×3, first 2 shown]
	v_fma_f32 v37, v40, s9, -v90
	v_add_f32_e32 v4, v4, v50
	v_fmac_f32_e32 v52, 0x3ed4b147, v51
	ds_write2_b64 v32, v[16:17], v[14:15] offset1:90
	v_add_u32_e32 v14, 0x400, v32
	v_add_f32_e32 v18, v82, v18
	v_fmac_f32_e32 v85, 0x3ed4b147, v72
	v_add_f32_e32 v30, v83, v30
	v_fmac_f32_e32 v86, 0xbe11bafb, v69
	v_add_f32_e32 v5, v37, v5
	v_fma_f32 v37, v43, s14, -v44
	v_add_f32_e32 v4, v52, v4
	v_fmac_f32_e32 v67, 0xbe11bafb, v53
	ds_write2_b64 v14, v[12:13], v[10:11] offset0:52 offset1:142
	v_add_u32_e32 v10, 0x800, v32
	v_add_f32_e32 v18, v85, v18
	v_add_f32_e32 v30, v86, v30
	v_fmac_f32_e32 v89, 0x3f575c64, v72
	v_add_f32_e32 v5, v37, v5
	v_fma_f32 v37, v45, s8, -v46
	v_add_f32_e32 v4, v67, v4
	v_fmac_f32_e32 v70, 0xbf27a4f4, v69
	ds_write2_b64 v10, v[8:9], v[6:7] offset0:104 offset1:194
	v_add_u32_e32 v6, 0x1000, v32
	v_add_f32_e32 v30, v89, v30
	v_add_f32_e32 v5, v37, v5
	v_fma_f32 v37, v47, s2, -v48
	v_add_f32_e32 v4, v70, v4
	v_fmac_f32_e32 v73, 0xbf75a155, v72
	ds_write2_b64 v6, v[2:3], v[18:19] offset0:28 offset1:118
	v_add_u32_e32 v2, 0x1400, v32
	v_add_f32_e32 v5, v37, v5
	v_add_f32_e32 v4, v73, v4
	ds_write2_b64 v2, v[0:1], v[30:31] offset0:80 offset1:170
	ds_write_b64 v32, v[4:5] offset:7200
.LBB0_23:
	s_or_b64 exec, exec, s[6:7]
	s_waitcnt lgkmcnt(0)
	s_barrier
	ds_read_b64 v[2:3], v32
	s_add_u32 s8, s12, 0x1ee0
	s_addc_u32 s9, s13, 0
	v_sub_u32_e32 v4, 0, v25
	v_cmp_ne_u32_e64 s[2:3], 0, v24
                                        ; implicit-def: $vgpr1
                                        ; implicit-def: $vgpr6
	s_and_saveexec_b64 s[6:7], s[2:3]
	s_xor_b64 s[6:7], exec, s[6:7]
	s_cbranch_execz .LBB0_25
; %bb.24:
	v_mov_b32_e32 v25, 0
	v_lshlrev_b64 v[0:1], 3, v[24:25]
	v_mov_b32_e32 v5, s9
	v_add_co_u32_e64 v0, s[2:3], s8, v0
	v_addc_co_u32_e64 v1, s[2:3], v5, v1, s[2:3]
	global_load_dwordx2 v[5:6], v[0:1], off
	ds_read_b64 v[0:1], v4 offset:7920
	s_waitcnt lgkmcnt(0)
	v_add_f32_e32 v7, v0, v2
	v_sub_f32_e32 v0, v2, v0
	v_add_f32_e32 v8, v1, v3
	v_sub_f32_e32 v1, v3, v1
	v_mul_f32_e32 v3, 0.5, v0
	v_mul_f32_e32 v0, 0.5, v1
	;; [unrolled: 1-line block ×3, first 2 shown]
	s_waitcnt vmcnt(0)
	v_mul_f32_e32 v1, v6, v3
	v_fma_f32 v10, 0.5, v7, v1
	v_fma_f32 v8, v2, v6, v0
	v_fma_f32 v9, v2, v6, -v0
	v_fma_f32 v0, v7, 0.5, -v1
	v_fmac_f32_e32 v10, v5, v2
	v_fma_f32 v6, -v5, v3, v8
	v_fma_f32 v0, -v5, v2, v0
	ds_write_b32 v32, v10
	v_fma_f32 v1, -v5, v3, v9
                                        ; implicit-def: $vgpr2_vgpr3
.LBB0_25:
	s_or_saveexec_b64 s[2:3], s[6:7]
	v_sub_u32_e32 v5, 0, v27
	v_sub_u32_e32 v7, 0, v35
	s_xor_b64 exec, exec, s[2:3]
	s_cbranch_execz .LBB0_27
; %bb.26:
	v_mov_b32_e32 v6, 0
	ds_read_b32 v1, v6 offset:3964
	s_waitcnt lgkmcnt(1)
	v_add_f32_e32 v8, v2, v3
	v_sub_f32_e32 v0, v2, v3
	ds_write_b32 v32, v8
	s_waitcnt lgkmcnt(1)
	v_xor_b32_e32 v1, 0x80000000, v1
	ds_write_b32 v6, v1 offset:3964
	v_mov_b32_e32 v1, v6
.LBB0_27:
	s_or_b64 exec, exec, s[2:3]
	v_mov_b32_e32 v27, 0
	s_waitcnt lgkmcnt(0)
	v_lshlrev_b64 v[2:3], 3, v[26:27]
	v_mov_b32_e32 v8, s9
	v_add_co_u32_e64 v2, s[2:3], s8, v2
	v_addc_co_u32_e64 v3, s[2:3], v8, v3, s[2:3]
	global_load_dwordx2 v[2:3], v[2:3], off
	v_mov_b32_e32 v30, v27
	v_lshlrev_b64 v[8:9], 3, v[29:30]
	v_mov_b32_e32 v10, s9
	v_add_co_u32_e64 v8, s[2:3], s8, v8
	v_addc_co_u32_e64 v9, s[2:3], v10, v9, s[2:3]
	global_load_dwordx2 v[8:9], v[8:9], off
	v_mov_b32_e32 v29, v27
	v_lshlrev_b64 v[10:11], 3, v[28:29]
	v_mov_b32_e32 v12, s9
	v_add_co_u32_e64 v10, s[2:3], s8, v10
	v_addc_co_u32_e64 v11, s[2:3], v12, v11, s[2:3]
	global_load_dwordx2 v[10:11], v[10:11], off
	ds_write_b32 v32, v6 offset:4
	ds_write_b64 v4, v[0:1] offset:7920
	ds_read_b64 v[0:1], v36
	ds_read_b64 v[12:13], v4 offset:7040
	v_add_u32_e32 v6, v34, v7
	v_add_u32_e32 v5, v33, v5
	s_waitcnt lgkmcnt(0)
	v_add_f32_e32 v7, v0, v12
	v_sub_f32_e32 v0, v0, v12
	v_add_f32_e32 v14, v1, v13
	v_sub_f32_e32 v1, v1, v13
	v_mul_f32_e32 v13, 0.5, v0
	v_mul_f32_e32 v12, 0.5, v14
	;; [unrolled: 1-line block ×3, first 2 shown]
	s_waitcnt vmcnt(2)
	v_mul_f32_e32 v14, v3, v13
	v_fma_f32 v1, v12, v3, v0
	v_fma_f32 v3, v12, v3, -v0
	v_fma_f32 v0, 0.5, v7, v14
	v_fma_f32 v1, -v2, v13, v1
	v_fma_f32 v7, v7, 0.5, -v14
	v_fmac_f32_e32 v0, v2, v12
	v_fma_f32 v3, -v2, v13, v3
	v_fma_f32 v2, -v2, v12, v7
	ds_write_b64 v36, v[0:1]
	ds_write_b64 v4, v[2:3] offset:7040
	ds_read_b64 v[0:1], v6
	ds_read_b64 v[2:3], v4 offset:6160
	s_waitcnt lgkmcnt(0)
	v_add_f32_e32 v7, v0, v2
	v_sub_f32_e32 v0, v0, v2
	v_add_f32_e32 v12, v1, v3
	v_sub_f32_e32 v1, v1, v3
	v_mul_f32_e32 v3, 0.5, v0
	v_mul_f32_e32 v2, 0.5, v12
	;; [unrolled: 1-line block ×3, first 2 shown]
	s_waitcnt vmcnt(1)
	v_mul_f32_e32 v12, v9, v3
	v_fma_f32 v1, v2, v9, v0
	v_fma_f32 v9, v2, v9, -v0
	v_fma_f32 v0, 0.5, v7, v12
	v_fma_f32 v1, -v8, v3, v1
	v_fma_f32 v7, v7, 0.5, -v12
	v_fmac_f32_e32 v0, v8, v2
	v_fma_f32 v3, -v8, v3, v9
	v_fma_f32 v2, -v8, v2, v7
	ds_write_b64 v6, v[0:1]
	ds_write_b64 v4, v[2:3] offset:6160
	ds_read_b64 v[0:1], v5
	ds_read_b64 v[2:3], v4 offset:5280
	s_waitcnt lgkmcnt(0)
	v_add_f32_e32 v6, v0, v2
	v_sub_f32_e32 v0, v0, v2
	v_add_f32_e32 v7, v1, v3
	v_sub_f32_e32 v1, v1, v3
	v_mul_f32_e32 v3, 0.5, v0
	v_mul_f32_e32 v2, 0.5, v7
	;; [unrolled: 1-line block ×3, first 2 shown]
	s_waitcnt vmcnt(0)
	v_mul_f32_e32 v7, v11, v3
	v_fma_f32 v1, v2, v11, v0
	v_fma_f32 v8, v2, v11, -v0
	v_fma_f32 v0, 0.5, v6, v7
	v_fma_f32 v1, -v10, v3, v1
	v_fma_f32 v6, v6, 0.5, -v7
	v_fmac_f32_e32 v0, v10, v2
	v_fma_f32 v3, -v10, v3, v8
	v_fma_f32 v2, -v10, v2, v6
	ds_write_b64 v5, v[0:1]
	ds_write_b64 v4, v[2:3] offset:5280
	s_and_saveexec_b64 s[2:3], vcc
	s_cbranch_execz .LBB0_29
; %bb.28:
	v_mov_b32_e32 v25, v27
	v_lshlrev_b64 v[0:1], 3, v[24:25]
	v_mov_b32_e32 v2, s9
	v_add_co_u32_e32 v0, vcc, s8, v0
	v_addc_co_u32_e32 v1, vcc, v2, v1, vcc
	global_load_dwordx2 v[0:1], v[0:1], off offset:3520
	ds_read_b64 v[2:3], v32 offset:3520
	ds_read_b64 v[5:6], v4 offset:4400
	s_waitcnt lgkmcnt(0)
	v_add_f32_e32 v7, v2, v5
	v_sub_f32_e32 v2, v2, v5
	v_add_f32_e32 v8, v3, v6
	v_sub_f32_e32 v3, v3, v6
	v_mul_f32_e32 v6, 0.5, v2
	v_mul_f32_e32 v5, 0.5, v8
	;; [unrolled: 1-line block ×3, first 2 shown]
	s_waitcnt vmcnt(0)
	v_mul_f32_e32 v3, v1, v6
	v_fma_f32 v8, v5, v1, v2
	v_fma_f32 v9, v5, v1, -v2
	v_fma_f32 v1, 0.5, v7, v3
	v_fma_f32 v2, -v0, v6, v8
	v_fma_f32 v3, v7, 0.5, -v3
	v_fmac_f32_e32 v1, v0, v5
	v_fma_f32 v6, -v0, v6, v9
	v_fma_f32 v5, -v0, v5, v3
	ds_write_b64 v32, v[1:2] offset:3520
	ds_write_b64 v4, v[5:6] offset:4400
.LBB0_29:
	s_or_b64 exec, exec, s[2:3]
	s_waitcnt lgkmcnt(0)
	s_barrier
	s_and_saveexec_b64 s[2:3], s[0:1]
	s_cbranch_execz .LBB0_32
; %bb.30:
	v_mul_lo_u32 v2, s5, v22
	v_mul_lo_u32 v3, s4, v23
	v_mad_u64_u32 v[0:1], s[0:1], s4, v22, 0
	v_mov_b32_e32 v6, s11
	v_lshl_add_u32 v8, v24, 3, 0
	v_add3_u32 v1, v1, v3, v2
	v_lshlrev_b64 v[0:1], 3, v[0:1]
	v_mov_b32_e32 v25, 0
	v_add_co_u32_e32 v0, vcc, s10, v0
	v_addc_co_u32_e32 v9, vcc, v6, v1, vcc
	v_lshlrev_b64 v[6:7], 3, v[20:21]
	ds_read2_b64 v[2:5], v8 offset1:110
	v_add_co_u32_e32 v1, vcc, v0, v6
	v_addc_co_u32_e32 v0, vcc, v9, v7, vcc
	v_lshlrev_b64 v[6:7], 3, v[24:25]
	s_movk_i32 s0, 0x6d
	v_add_co_u32_e32 v6, vcc, v1, v6
	v_addc_co_u32_e32 v7, vcc, v0, v7, vcc
	s_waitcnt lgkmcnt(0)
	global_store_dwordx2 v[6:7], v[2:3], off
	v_add_u32_e32 v2, 0x6e, v24
	v_mov_b32_e32 v3, v25
	v_lshlrev_b64 v[2:3], 3, v[2:3]
	v_add_u32_e32 v6, 0xdc, v24
	v_add_co_u32_e32 v2, vcc, v1, v2
	v_addc_co_u32_e32 v3, vcc, v0, v3, vcc
	global_store_dwordx2 v[2:3], v[4:5], off
	v_add_u32_e32 v2, 0x400, v8
	v_mov_b32_e32 v7, v25
	ds_read2_b64 v[2:5], v2 offset0:92 offset1:202
	v_lshlrev_b64 v[6:7], 3, v[6:7]
	v_add_co_u32_e32 v6, vcc, v1, v6
	v_addc_co_u32_e32 v7, vcc, v0, v7, vcc
	s_waitcnt lgkmcnt(0)
	global_store_dwordx2 v[6:7], v[2:3], off
	v_add_u32_e32 v2, 0x14a, v24
	v_mov_b32_e32 v3, v25
	v_lshlrev_b64 v[2:3], 3, v[2:3]
	v_add_u32_e32 v6, 0x1b8, v24
	v_add_co_u32_e32 v2, vcc, v1, v2
	v_addc_co_u32_e32 v3, vcc, v0, v3, vcc
	global_store_dwordx2 v[2:3], v[4:5], off
	v_add_u32_e32 v2, 0xc00, v8
	v_mov_b32_e32 v7, v25
	ds_read2_b64 v[2:5], v2 offset0:56 offset1:166
	v_lshlrev_b64 v[6:7], 3, v[6:7]
	;; [unrolled: 15-line block ×3, first 2 shown]
	v_add_co_u32_e32 v6, vcc, v1, v6
	v_addc_co_u32_e32 v7, vcc, v0, v7, vcc
	s_waitcnt lgkmcnt(0)
	global_store_dwordx2 v[6:7], v[2:3], off
	v_add_u32_e32 v2, 0x302, v24
	v_mov_b32_e32 v3, v25
	v_lshlrev_b64 v[2:3], 3, v[2:3]
	v_add_co_u32_e32 v2, vcc, v1, v2
	v_addc_co_u32_e32 v3, vcc, v0, v3, vcc
	global_store_dwordx2 v[2:3], v[4:5], off
	v_add_u32_e32 v2, 0x370, v24
	v_mov_b32_e32 v3, v25
	ds_read_b64 v[4:5], v8 offset:7040
	v_lshlrev_b64 v[2:3], 3, v[2:3]
	v_add_co_u32_e32 v2, vcc, v1, v2
	v_addc_co_u32_e32 v3, vcc, v0, v3, vcc
	v_cmp_eq_u32_e32 vcc, s0, v24
	s_waitcnt lgkmcnt(0)
	global_store_dwordx2 v[2:3], v[4:5], off
	s_and_b64 exec, exec, vcc
	s_cbranch_execz .LBB0_32
; %bb.31:
	ds_read_b64 v[2:3], v25 offset:7920
	v_add_co_u32_e32 v4, vcc, 0x1000, v1
	v_addc_co_u32_e32 v5, vcc, 0, v0, vcc
	s_waitcnt lgkmcnt(0)
	global_store_dwordx2 v[4:5], v[2:3], off offset:3824
.LBB0_32:
	s_endpgm
	.section	.rodata,"a",@progbits
	.p2align	6, 0x0
	.amdhsa_kernel fft_rtc_fwd_len990_factors_2_3_3_5_11_wgs_110_tpt_110_sp_op_CI_CI_unitstride_sbrr_R2C_dirReg
		.amdhsa_group_segment_fixed_size 0
		.amdhsa_private_segment_fixed_size 0
		.amdhsa_kernarg_size 104
		.amdhsa_user_sgpr_count 6
		.amdhsa_user_sgpr_private_segment_buffer 1
		.amdhsa_user_sgpr_dispatch_ptr 0
		.amdhsa_user_sgpr_queue_ptr 0
		.amdhsa_user_sgpr_kernarg_segment_ptr 1
		.amdhsa_user_sgpr_dispatch_id 0
		.amdhsa_user_sgpr_flat_scratch_init 0
		.amdhsa_user_sgpr_private_segment_size 0
		.amdhsa_uses_dynamic_stack 0
		.amdhsa_system_sgpr_private_segment_wavefront_offset 0
		.amdhsa_system_sgpr_workgroup_id_x 1
		.amdhsa_system_sgpr_workgroup_id_y 0
		.amdhsa_system_sgpr_workgroup_id_z 0
		.amdhsa_system_sgpr_workgroup_info 0
		.amdhsa_system_vgpr_workitem_id 0
		.amdhsa_next_free_vgpr 92
		.amdhsa_next_free_sgpr 28
		.amdhsa_reserve_vcc 1
		.amdhsa_reserve_flat_scratch 0
		.amdhsa_float_round_mode_32 0
		.amdhsa_float_round_mode_16_64 0
		.amdhsa_float_denorm_mode_32 3
		.amdhsa_float_denorm_mode_16_64 3
		.amdhsa_dx10_clamp 1
		.amdhsa_ieee_mode 1
		.amdhsa_fp16_overflow 0
		.amdhsa_exception_fp_ieee_invalid_op 0
		.amdhsa_exception_fp_denorm_src 0
		.amdhsa_exception_fp_ieee_div_zero 0
		.amdhsa_exception_fp_ieee_overflow 0
		.amdhsa_exception_fp_ieee_underflow 0
		.amdhsa_exception_fp_ieee_inexact 0
		.amdhsa_exception_int_div_zero 0
	.end_amdhsa_kernel
	.text
.Lfunc_end0:
	.size	fft_rtc_fwd_len990_factors_2_3_3_5_11_wgs_110_tpt_110_sp_op_CI_CI_unitstride_sbrr_R2C_dirReg, .Lfunc_end0-fft_rtc_fwd_len990_factors_2_3_3_5_11_wgs_110_tpt_110_sp_op_CI_CI_unitstride_sbrr_R2C_dirReg
                                        ; -- End function
	.section	.AMDGPU.csdata,"",@progbits
; Kernel info:
; codeLenInByte = 8344
; NumSgprs: 32
; NumVgprs: 92
; ScratchSize: 0
; MemoryBound: 0
; FloatMode: 240
; IeeeMode: 1
; LDSByteSize: 0 bytes/workgroup (compile time only)
; SGPRBlocks: 3
; VGPRBlocks: 22
; NumSGPRsForWavesPerEU: 32
; NumVGPRsForWavesPerEU: 92
; Occupancy: 2
; WaveLimiterHint : 1
; COMPUTE_PGM_RSRC2:SCRATCH_EN: 0
; COMPUTE_PGM_RSRC2:USER_SGPR: 6
; COMPUTE_PGM_RSRC2:TRAP_HANDLER: 0
; COMPUTE_PGM_RSRC2:TGID_X_EN: 1
; COMPUTE_PGM_RSRC2:TGID_Y_EN: 0
; COMPUTE_PGM_RSRC2:TGID_Z_EN: 0
; COMPUTE_PGM_RSRC2:TIDIG_COMP_CNT: 0
	.type	__hip_cuid_20db5e9c78be552a,@object ; @__hip_cuid_20db5e9c78be552a
	.section	.bss,"aw",@nobits
	.globl	__hip_cuid_20db5e9c78be552a
__hip_cuid_20db5e9c78be552a:
	.byte	0                               ; 0x0
	.size	__hip_cuid_20db5e9c78be552a, 1

	.ident	"AMD clang version 19.0.0git (https://github.com/RadeonOpenCompute/llvm-project roc-6.4.0 25133 c7fe45cf4b819c5991fe208aaa96edf142730f1d)"
	.section	".note.GNU-stack","",@progbits
	.addrsig
	.addrsig_sym __hip_cuid_20db5e9c78be552a
	.amdgpu_metadata
---
amdhsa.kernels:
  - .args:
      - .actual_access:  read_only
        .address_space:  global
        .offset:         0
        .size:           8
        .value_kind:     global_buffer
      - .offset:         8
        .size:           8
        .value_kind:     by_value
      - .actual_access:  read_only
        .address_space:  global
        .offset:         16
        .size:           8
        .value_kind:     global_buffer
      - .actual_access:  read_only
        .address_space:  global
        .offset:         24
        .size:           8
        .value_kind:     global_buffer
      - .actual_access:  read_only
        .address_space:  global
        .offset:         32
        .size:           8
        .value_kind:     global_buffer
      - .offset:         40
        .size:           8
        .value_kind:     by_value
      - .actual_access:  read_only
        .address_space:  global
        .offset:         48
        .size:           8
        .value_kind:     global_buffer
      - .actual_access:  read_only
        .address_space:  global
        .offset:         56
        .size:           8
        .value_kind:     global_buffer
      - .offset:         64
        .size:           4
        .value_kind:     by_value
      - .actual_access:  read_only
        .address_space:  global
        .offset:         72
        .size:           8
        .value_kind:     global_buffer
      - .actual_access:  read_only
        .address_space:  global
        .offset:         80
        .size:           8
        .value_kind:     global_buffer
      - .actual_access:  read_only
        .address_space:  global
        .offset:         88
        .size:           8
        .value_kind:     global_buffer
      - .actual_access:  write_only
        .address_space:  global
        .offset:         96
        .size:           8
        .value_kind:     global_buffer
    .group_segment_fixed_size: 0
    .kernarg_segment_align: 8
    .kernarg_segment_size: 104
    .language:       OpenCL C
    .language_version:
      - 2
      - 0
    .max_flat_workgroup_size: 110
    .name:           fft_rtc_fwd_len990_factors_2_3_3_5_11_wgs_110_tpt_110_sp_op_CI_CI_unitstride_sbrr_R2C_dirReg
    .private_segment_fixed_size: 0
    .sgpr_count:     32
    .sgpr_spill_count: 0
    .symbol:         fft_rtc_fwd_len990_factors_2_3_3_5_11_wgs_110_tpt_110_sp_op_CI_CI_unitstride_sbrr_R2C_dirReg.kd
    .uniform_work_group_size: 1
    .uses_dynamic_stack: false
    .vgpr_count:     92
    .vgpr_spill_count: 0
    .wavefront_size: 64
amdhsa.target:   amdgcn-amd-amdhsa--gfx906
amdhsa.version:
  - 1
  - 2
...

	.end_amdgpu_metadata
